;; amdgpu-corpus repo=zjin-lcf/HeCBench kind=compiled arch=gfx90a opt=O3
	.text
	.amdgcn_target "amdgcn-amd-amdhsa--gfx90a"
	.amdhsa_code_object_version 6
	.protected	_Z11sortElementP15HIP_vector_typeIfLj4EES1_i ; -- Begin function _Z11sortElementP15HIP_vector_typeIfLj4EES1_i
	.globl	_Z11sortElementP15HIP_vector_typeIfLj4EES1_i
	.p2align	8
	.type	_Z11sortElementP15HIP_vector_typeIfLj4EES1_i,@function
_Z11sortElementP15HIP_vector_typeIfLj4EES1_i: ; @_Z11sortElementP15HIP_vector_typeIfLj4EES1_i
; %bb.0:
	s_load_dword s0, s[4:5], 0x24
	s_load_dword s1, s[4:5], 0x10
	s_waitcnt lgkmcnt(0)
	s_and_b32 s0, s0, 0xffff
	s_mul_i32 s6, s6, s0
	v_add_u32_e32 v0, s6, v0
	v_cmp_gt_i32_e32 vcc, s1, v0
	s_and_saveexec_b64 s[0:1], vcc
	s_cbranch_execz .LBB0_2
; %bb.1:
	s_load_dwordx4 s[0:3], s[4:5], 0x0
	v_ashrrev_i32_e32 v1, 31, v0
	v_lshlrev_b64 v[4:5], 4, v[0:1]
	s_waitcnt lgkmcnt(0)
	v_mov_b32_e32 v1, s3
	v_add_co_u32_e32 v0, vcc, s2, v4
	v_addc_co_u32_e32 v1, vcc, v1, v5, vcc
	global_load_dwordx4 v[0:3], v[0:1], off
	v_mov_b32_e32 v6, s1
	s_waitcnt vmcnt(0)
	v_cmp_gt_f32_e32 vcc, v0, v1
	v_cndmask_b32_e32 v7, v0, v1, vcc
	v_cmp_gt_f32_e32 vcc, v1, v0
	v_cndmask_b32_e32 v1, v0, v1, vcc
	;; [unrolled: 2-line block ×10, first 2 shown]
	v_add_co_u32_e32 v4, vcc, s0, v4
	v_addc_co_u32_e32 v5, vcc, v6, v5, vcc
	global_store_dwordx4 v[4:5], v[0:3], off
.LBB0_2:
	s_endpgm
	.section	.rodata,"a",@progbits
	.p2align	6, 0x0
	.amdhsa_kernel _Z11sortElementP15HIP_vector_typeIfLj4EES1_i
		.amdhsa_group_segment_fixed_size 0
		.amdhsa_private_segment_fixed_size 0
		.amdhsa_kernarg_size 280
		.amdhsa_user_sgpr_count 6
		.amdhsa_user_sgpr_private_segment_buffer 1
		.amdhsa_user_sgpr_dispatch_ptr 0
		.amdhsa_user_sgpr_queue_ptr 0
		.amdhsa_user_sgpr_kernarg_segment_ptr 1
		.amdhsa_user_sgpr_dispatch_id 0
		.amdhsa_user_sgpr_flat_scratch_init 0
		.amdhsa_user_sgpr_kernarg_preload_length 0
		.amdhsa_user_sgpr_kernarg_preload_offset 0
		.amdhsa_user_sgpr_private_segment_size 0
		.amdhsa_uses_dynamic_stack 0
		.amdhsa_system_sgpr_private_segment_wavefront_offset 0
		.amdhsa_system_sgpr_workgroup_id_x 1
		.amdhsa_system_sgpr_workgroup_id_y 0
		.amdhsa_system_sgpr_workgroup_id_z 0
		.amdhsa_system_sgpr_workgroup_info 0
		.amdhsa_system_vgpr_workitem_id 0
		.amdhsa_next_free_vgpr 10
		.amdhsa_next_free_sgpr 7
		.amdhsa_accum_offset 12
		.amdhsa_reserve_vcc 1
		.amdhsa_reserve_flat_scratch 0
		.amdhsa_float_round_mode_32 0
		.amdhsa_float_round_mode_16_64 0
		.amdhsa_float_denorm_mode_32 3
		.amdhsa_float_denorm_mode_16_64 3
		.amdhsa_dx10_clamp 1
		.amdhsa_ieee_mode 1
		.amdhsa_fp16_overflow 0
		.amdhsa_tg_split 0
		.amdhsa_exception_fp_ieee_invalid_op 0
		.amdhsa_exception_fp_denorm_src 0
		.amdhsa_exception_fp_ieee_div_zero 0
		.amdhsa_exception_fp_ieee_overflow 0
		.amdhsa_exception_fp_ieee_underflow 0
		.amdhsa_exception_fp_ieee_inexact 0
		.amdhsa_exception_int_div_zero 0
	.end_amdhsa_kernel
	.text
.Lfunc_end0:
	.size	_Z11sortElementP15HIP_vector_typeIfLj4EES1_i, .Lfunc_end0-_Z11sortElementP15HIP_vector_typeIfLj4EES1_i
                                        ; -- End function
	.section	.AMDGPU.csdata,"",@progbits
; Kernel info:
; codeLenInByte = 200
; NumSgprs: 11
; NumVgprs: 10
; NumAgprs: 0
; TotalNumVgprs: 10
; ScratchSize: 0
; MemoryBound: 0
; FloatMode: 240
; IeeeMode: 1
; LDSByteSize: 0 bytes/workgroup (compile time only)
; SGPRBlocks: 1
; VGPRBlocks: 1
; NumSGPRsForWavesPerEU: 11
; NumVGPRsForWavesPerEU: 10
; AccumOffset: 12
; Occupancy: 8
; WaveLimiterHint : 0
; COMPUTE_PGM_RSRC2:SCRATCH_EN: 0
; COMPUTE_PGM_RSRC2:USER_SGPR: 6
; COMPUTE_PGM_RSRC2:TRAP_HANDLER: 0
; COMPUTE_PGM_RSRC2:TGID_X_EN: 1
; COMPUTE_PGM_RSRC2:TGID_Y_EN: 0
; COMPUTE_PGM_RSRC2:TGID_Z_EN: 0
; COMPUTE_PGM_RSRC2:TIDIG_COMP_CNT: 0
; COMPUTE_PGM_RSRC3_GFX90A:ACCUM_OFFSET: 2
; COMPUTE_PGM_RSRC3_GFX90A:TG_SPLIT: 0
	.text
	.protected	_Z13mergeSortPassPK15HIP_vector_typeIfLj4EEPS0_PKiiii ; -- Begin function _Z13mergeSortPassPK15HIP_vector_typeIfLj4EEPS0_PKiiii
	.globl	_Z13mergeSortPassPK15HIP_vector_typeIfLj4EEPS0_PKiiii
	.p2align	8
	.type	_Z13mergeSortPassPK15HIP_vector_typeIfLj4EEPS0_PKiiii,@function
_Z13mergeSortPassPK15HIP_vector_typeIfLj4EEPS0_PKiiii: ; @_Z13mergeSortPassPK15HIP_vector_typeIfLj4EEPS0_PKiiii
; %bb.0:
	s_load_dwordx4 s[0:3], s[4:5], 0x18
	s_waitcnt lgkmcnt(0)
	s_load_dword s3, s[4:5], 0x34
	s_abs_i32 s7, s0
	v_cvt_f32_u32_e32 v1, s7
	s_waitcnt lgkmcnt(0)
	s_and_b32 s3, s3, 0xffff
	s_mul_i32 s6, s6, s3
	s_sub_i32 s3, 0, s7
	v_rcp_iflag_f32_e32 v1, v1
	v_add_u32_e32 v4, s6, v0
	v_sub_u32_e32 v2, 0, v4
	v_max_i32_e32 v2, v4, v2
	v_mul_f32_e32 v1, 0x4f7ffffe, v1
	v_cvt_u32_f32_e32 v1, v1
	v_xor_b32_e32 v0, s0, v4
	v_ashrrev_i32_e32 v0, 31, v0
	v_mul_lo_u32 v3, s3, v1
	v_mul_hi_u32 v3, v1, v3
	v_add_u32_e32 v1, v1, v3
	v_mul_hi_u32 v1, v2, v1
	v_mul_lo_u32 v3, v1, s7
	v_sub_u32_e32 v2, v2, v3
	v_add_u32_e32 v5, 1, v1
	v_cmp_le_u32_e32 vcc, s7, v2
	v_subrev_u32_e32 v3, s7, v2
	v_cndmask_b32_e32 v1, v1, v5, vcc
	v_cndmask_b32_e32 v2, v2, v3, vcc
	v_add_u32_e32 v3, 1, v1
	v_cmp_le_u32_e32 vcc, s7, v2
	v_cndmask_b32_e32 v1, v1, v3, vcc
	v_xor_b32_e32 v1, v1, v0
	v_sub_u32_e32 v0, v1, v0
	s_movk_i32 s3, 0x400
	v_cmp_gt_i32_e32 vcc, s3, v0
	s_and_saveexec_b64 s[6:7], vcc
	s_cbranch_execz .LBB1_24
; %bb.1:
	s_load_dwordx2 s[6:7], s[4:5], 0x10
	v_ashrrev_i32_e32 v1, 31, v0
	v_lshlrev_b64 v[2:3], 2, v[0:1]
	v_mul_lo_u32 v0, v0, s0
	v_sub_u32_e32 v0, v4, v0
	s_waitcnt lgkmcnt(0)
	v_mov_b32_e32 v1, s7
	v_add_co_u32_e32 v20, vcc, s6, v2
	v_addc_co_u32_e32 v21, vcc, v1, v3, vcc
	global_load_dwordx2 v[2:3], v[20:21], off
	s_waitcnt vmcnt(0)
	v_mad_u64_u32 v[0:1], s[6:7], v0, s1, v[2:3]
	v_cmp_lt_i32_e32 vcc, v0, v3
	s_and_b64 exec, exec, vcc
	s_cbranch_execz .LBB1_24
; %bb.2:
	s_load_dwordx4 s[4:7], s[4:5], 0x0
	s_lshr_b32 s0, s1, 31
	s_add_i32 s0, s1, s0
	s_ashr_i32 s8, s0, 1
	v_add_u32_e32 v10, s8, v0
	v_ashrrev_i32_e32 v1, 31, v0
	v_cmp_ge_i32_e32 vcc, v10, v3
	v_lshlrev_b64 v[8:9], 4, v[0:1]
	s_and_saveexec_b64 s[0:1], vcc
	s_xor_b64 s[10:11], exec, s[0:1]
	s_cbranch_execz .LBB1_6
; %bb.3:
	s_waitcnt lgkmcnt(0)
	v_mov_b32_e32 v1, s7
	v_add_co_u32_e32 v2, vcc, s6, v8
	v_addc_co_u32_e32 v3, vcc, v1, v9, vcc
	s_mov_b32 s3, 0
	s_mov_b64 s[12:13], 0
	v_mov_b32_e32 v1, s5
.LBB1_4:                                ; =>This Inner Loop Header: Depth=1
	v_add_u32_e32 v4, s3, v0
	v_ashrrev_i32_e32 v5, 31, v4
	v_lshlrev_b64 v[4:5], 4, v[4:5]
	v_add_co_u32_e32 v4, vcc, s4, v4
	v_addc_co_u32_e32 v5, vcc, v1, v5, vcc
	global_load_dwordx4 v[4:7], v[4:5], off
	s_add_i32 s3, s3, 1
	s_waitcnt vmcnt(0)
	global_store_dwordx4 v[2:3], v[4:7], off
	global_load_dword v4, v[20:21], off offset:4
	v_add_co_u32_e32 v2, vcc, 16, v2
	v_addc_co_u32_e32 v3, vcc, 0, v3, vcc
	s_waitcnt vmcnt(0)
	v_sub_u32_e32 v4, v4, v0
	v_cmp_ge_i32_e64 s[0:1], s3, v4
	s_or_b64 s[12:13], s[0:1], s[12:13]
	s_andn2_b64 exec, exec, s[12:13]
	s_cbranch_execnz .LBB1_4
; %bb.5:
	s_or_b64 exec, exec, s[12:13]
                                        ; implicit-def: $vgpr20_vgpr21
                                        ; implicit-def: $vgpr8_vgpr9
                                        ; implicit-def: $vgpr10
.LBB1_6:
	s_andn2_saveexec_b64 s[0:1], s[10:11]
	s_cbranch_execz .LBB1_24
; %bb.7:
	s_waitcnt lgkmcnt(0)
	v_mov_b32_e32 v30, s5
	v_add_co_u32_e32 v22, vcc, s4, v8
	s_ashr_i32 s9, s8, 31
	v_addc_co_u32_e32 v23, vcc, v30, v9, vcc
	s_lshl_b64 s[0:1], s[8:9], 4
	v_mov_b32_e32 v0, s1
	v_add_co_u32_e32 v12, vcc, s0, v22
	v_addc_co_u32_e32 v13, vcc, v23, v0, vcc
	global_load_dwordx4 v[4:7], v[22:23], off
	global_load_dwordx4 v[0:3], v[12:13], off
	v_add_u32_e32 v31, 1, v10
	v_mov_b32_e32 v10, s7
	v_add_co_u32_e32 v8, vcc, s6, v8
	v_addc_co_u32_e32 v9, vcc, v9, v10, vcc
	v_add_co_u32_e32 v24, vcc, -16, v8
	v_addc_co_u32_e32 v25, vcc, -1, v9, vcc
	s_mov_b64 s[0:1], 0
	v_mov_b32_e32 v32, 0
	v_mov_b32_e32 v26, 0
	s_branch .LBB1_10
.LBB1_8:                                ;   in Loop: Header=BB1_10 Depth=1
	s_or_b64 exec, exec, s[14:15]
	s_andn2_b64 s[6:7], s[6:7], exec
	s_and_b64 s[12:13], s[12:13], exec
	s_or_b64 s[6:7], s[6:7], s[12:13]
	v_mov_b32_e32 v26, v27
	s_waitcnt vmcnt(1)
	v_mov_b32_e32 v8, v12
.LBB1_9:                                ;   in Loop: Header=BB1_10 Depth=1
	s_or_b64 exec, exec, s[10:11]
	v_add_co_u32_e32 v24, vcc, 16, v24
	v_addc_co_u32_e32 v25, vcc, 0, v25, vcc
	v_cmp_ge_f32_e32 vcc, v7, v0
	v_cndmask_b32_e32 v0, v0, v7, vcc
	v_cmp_ge_f32_e32 vcc, v6, v1
	v_cndmask_b32_e32 v1, v1, v6, vcc
	;; [unrolled: 2-line block ×4, first 2 shown]
	v_cmp_gt_f32_e32 vcc, v0, v1
	v_cndmask_b32_e32 v4, v0, v1, vcc
	v_cmp_gt_f32_e32 vcc, v1, v0
	v_cndmask_b32_e32 v1, v0, v1, vcc
	;; [unrolled: 2-line block ×7, first 2 shown]
	v_cmp_gt_f32_e32 vcc, v2, v1
	s_xor_b64 s[6:7], s[6:7], -1
	v_cndmask_b32_e32 v3, v1, v2, vcc
	v_cmp_gt_f32_e32 vcc, v6, v4
	v_cndmask_b32_e32 v1, v6, v4, vcc
	v_cmp_gt_f32_e32 vcc, v4, v6
	s_and_b64 s[6:7], exec, s[6:7]
	v_cndmask_b32_e32 v2, v6, v4, vcc
	s_or_b64 s[0:1], s[6:7], s[0:1]
	v_mov_b32_e32 v4, v8
	v_mov_b32_e32 v5, v9
	;; [unrolled: 1-line block ×4, first 2 shown]
	s_andn2_b64 exec, exec, s[0:1]
	s_cbranch_execz .LBB1_23
.LBB1_10:                               ; =>This Inner Loop Header: Depth=1
	v_ashrrev_i32_e32 v27, 31, v26
	v_lshlrev_b64 v[8:9], 4, v[26:27]
	v_add_co_u32_e32 v8, vcc, v22, v8
	v_addc_co_u32_e32 v9, vcc, v23, v9, vcc
	global_load_dwordx4 v[12:15], v[8:9], off offset:16
	v_add_u32_e32 v28, v31, v32
	v_cmp_gt_i32_e32 vcc, s2, v28
	s_waitcnt vmcnt(2)
	v_mov_b32_e32 v16, 0
	v_mov_b32_e32 v17, 0
	v_mov_b32_e32 v18, 0
	v_mov_b32_e32 v19, 0
	s_and_saveexec_b64 s[6:7], vcc
	s_cbranch_execz .LBB1_12
; %bb.11:                               ;   in Loop: Header=BB1_10 Depth=1
	v_ashrrev_i32_e32 v29, 31, v28
	v_lshlrev_b64 v[8:9], 4, v[28:29]
	v_add_co_u32_e32 v8, vcc, s4, v8
	v_addc_co_u32_e32 v9, vcc, v30, v9, vcc
	global_load_dwordx4 v[16:19], v[8:9], off
.LBB1_12:                               ;   in Loop: Header=BB1_10 Depth=1
	s_or_b64 exec, exec, s[6:7]
	s_waitcnt vmcnt(1)
	v_cmp_lt_f32_e32 vcc, v4, v3
	v_cndmask_b32_e32 v8, v3, v4, vcc
	v_cmp_lt_f32_e32 vcc, v5, v2
	v_cndmask_b32_e32 v9, v2, v5, vcc
	;; [unrolled: 2-line block ×4, first 2 shown]
	v_cmp_gt_f32_e32 vcc, v8, v9
	v_cndmask_b32_e32 v27, v8, v9, vcc
	v_cmp_gt_f32_e32 vcc, v9, v8
	v_cndmask_b32_e32 v9, v8, v9, vcc
	;; [unrolled: 2-line block ×9, first 2 shown]
	v_cmp_gt_f32_e32 vcc, v27, v33
	v_add_u32_e32 v29, 1, v32
	v_cndmask_b32_e32 v10, v33, v27, vcc
	v_cmp_gt_i32_e32 vcc, s8, v29
	s_mov_b64 s[12:13], 0
	global_store_dwordx4 v[24:25], v[8:11], off offset:16
	s_and_saveexec_b64 s[6:7], vcc
	s_cbranch_execz .LBB1_14
; %bb.13:                               ;   in Loop: Header=BB1_10 Depth=1
	global_load_dword v27, v[20:21], off offset:4
	s_waitcnt vmcnt(0)
	v_cmp_lt_i32_e32 vcc, v28, v27
	s_and_b64 s[12:13], vcc, exec
.LBB1_14:                               ;   in Loop: Header=BB1_10 Depth=1
	s_or_b64 exec, exec, s[6:7]
	v_add_u32_e32 v27, 1, v26
	v_cmp_le_i32_e32 vcc, s8, v27
                                        ; implicit-def: $sgpr6_sgpr7
	s_and_saveexec_b64 s[10:11], vcc
	s_xor_b64 s[10:11], exec, s[10:11]
	s_cbranch_execz .LBB1_18
; %bb.15:                               ;   in Loop: Header=BB1_10 Depth=1
	s_mov_b64 s[6:7], 0
	s_and_saveexec_b64 s[14:15], s[12:13]
	s_cbranch_execz .LBB1_17
; %bb.16:                               ;   in Loop: Header=BB1_10 Depth=1
	s_mov_b64 s[6:7], exec
	s_waitcnt vmcnt(1)
	v_mov_b32_e32 v11, v19
	v_mov_b32_e32 v10, v18
	;; [unrolled: 1-line block ×5, first 2 shown]
.LBB1_17:                               ;   in Loop: Header=BB1_10 Depth=1
	s_or_b64 exec, exec, s[14:15]
	s_and_b64 s[6:7], s[6:7], exec
                                        ; implicit-def: $vgpr12_vgpr13_vgpr14_vgpr15
                                        ; implicit-def: $vgpr16
                                        ; implicit-def: $vgpr29
                                        ; implicit-def: $vgpr27
.LBB1_18:                               ;   in Loop: Header=BB1_10 Depth=1
	s_andn2_saveexec_b64 s[10:11], s[10:11]
	s_cbranch_execz .LBB1_9
; %bb.19:                               ;   in Loop: Header=BB1_10 Depth=1
	s_xor_b64 s[14:15], s[12:13], -1
                                        ; implicit-def: $vgpr11
                                        ; implicit-def: $sgpr12_sgpr13
	s_and_saveexec_b64 s[16:17], s[14:15]
	s_xor_b64 s[14:15], exec, s[16:17]
	s_cbranch_execz .LBB1_21
; %bb.20:                               ;   in Loop: Header=BB1_10 Depth=1
	s_mov_b64 s[12:13], -1
	s_waitcnt vmcnt(1)
	v_mov_b32_e32 v11, v15
	v_mov_b32_e32 v10, v14
	;; [unrolled: 1-line block ×3, first 2 shown]
                                        ; implicit-def: $vgpr26
                                        ; implicit-def: $vgpr16
                                        ; implicit-def: $vgpr29
.LBB1_21:                               ;   in Loop: Header=BB1_10 Depth=1
	s_andn2_saveexec_b64 s[14:15], s[14:15]
	s_cbranch_execz .LBB1_8
; %bb.22:                               ;   in Loop: Header=BB1_10 Depth=1
	s_waitcnt vmcnt(1)
	v_cmp_lt_f32_e32 vcc, v12, v16
	v_cndmask_b32_e32 v12, v16, v12, vcc
	v_cndmask_b32_e32 v9, v17, v13, vcc
	;; [unrolled: 1-line block ×6, first 2 shown]
	s_or_b64 s[12:13], s[12:13], exec
	s_branch .LBB1_8
.LBB1_23:
	s_or_b64 exec, exec, s[0:1]
	global_store_dwordx4 v[24:25], v[0:3], off offset:16
.LBB1_24:
	s_endpgm
	.section	.rodata,"a",@progbits
	.p2align	6, 0x0
	.amdhsa_kernel _Z13mergeSortPassPK15HIP_vector_typeIfLj4EEPS0_PKiiii
		.amdhsa_group_segment_fixed_size 0
		.amdhsa_private_segment_fixed_size 0
		.amdhsa_kernarg_size 296
		.amdhsa_user_sgpr_count 6
		.amdhsa_user_sgpr_private_segment_buffer 1
		.amdhsa_user_sgpr_dispatch_ptr 0
		.amdhsa_user_sgpr_queue_ptr 0
		.amdhsa_user_sgpr_kernarg_segment_ptr 1
		.amdhsa_user_sgpr_dispatch_id 0
		.amdhsa_user_sgpr_flat_scratch_init 0
		.amdhsa_user_sgpr_kernarg_preload_length 0
		.amdhsa_user_sgpr_kernarg_preload_offset 0
		.amdhsa_user_sgpr_private_segment_size 0
		.amdhsa_uses_dynamic_stack 0
		.amdhsa_system_sgpr_private_segment_wavefront_offset 0
		.amdhsa_system_sgpr_workgroup_id_x 1
		.amdhsa_system_sgpr_workgroup_id_y 0
		.amdhsa_system_sgpr_workgroup_id_z 0
		.amdhsa_system_sgpr_workgroup_info 0
		.amdhsa_system_vgpr_workitem_id 0
		.amdhsa_next_free_vgpr 34
		.amdhsa_next_free_sgpr 18
		.amdhsa_accum_offset 36
		.amdhsa_reserve_vcc 1
		.amdhsa_reserve_flat_scratch 0
		.amdhsa_float_round_mode_32 0
		.amdhsa_float_round_mode_16_64 0
		.amdhsa_float_denorm_mode_32 3
		.amdhsa_float_denorm_mode_16_64 3
		.amdhsa_dx10_clamp 1
		.amdhsa_ieee_mode 1
		.amdhsa_fp16_overflow 0
		.amdhsa_tg_split 0
		.amdhsa_exception_fp_ieee_invalid_op 0
		.amdhsa_exception_fp_denorm_src 0
		.amdhsa_exception_fp_ieee_div_zero 0
		.amdhsa_exception_fp_ieee_overflow 0
		.amdhsa_exception_fp_ieee_underflow 0
		.amdhsa_exception_fp_ieee_inexact 0
		.amdhsa_exception_int_div_zero 0
	.end_amdhsa_kernel
	.text
.Lfunc_end1:
	.size	_Z13mergeSortPassPK15HIP_vector_typeIfLj4EEPS0_PKiiii, .Lfunc_end1-_Z13mergeSortPassPK15HIP_vector_typeIfLj4EEPS0_PKiiii
                                        ; -- End function
	.section	.AMDGPU.csdata,"",@progbits
; Kernel info:
; codeLenInByte = 1164
; NumSgprs: 22
; NumVgprs: 34
; NumAgprs: 0
; TotalNumVgprs: 34
; ScratchSize: 0
; MemoryBound: 0
; FloatMode: 240
; IeeeMode: 1
; LDSByteSize: 0 bytes/workgroup (compile time only)
; SGPRBlocks: 2
; VGPRBlocks: 4
; NumSGPRsForWavesPerEU: 22
; NumVGPRsForWavesPerEU: 34
; AccumOffset: 36
; Occupancy: 8
; WaveLimiterHint : 1
; COMPUTE_PGM_RSRC2:SCRATCH_EN: 0
; COMPUTE_PGM_RSRC2:USER_SGPR: 6
; COMPUTE_PGM_RSRC2:TRAP_HANDLER: 0
; COMPUTE_PGM_RSRC2:TGID_X_EN: 1
; COMPUTE_PGM_RSRC2:TGID_Y_EN: 0
; COMPUTE_PGM_RSRC2:TGID_Z_EN: 0
; COMPUTE_PGM_RSRC2:TIDIG_COMP_CNT: 0
; COMPUTE_PGM_RSRC3_GFX90A:ACCUM_OFFSET: 8
; COMPUTE_PGM_RSRC3_GFX90A:TG_SPLIT: 0
	.text
	.protected	_Z9mergepackPfPKfPKiPKjS5_ ; -- Begin function _Z9mergepackPfPKfPKiPKjS5_
	.globl	_Z9mergepackPfPKfPKiPKjS5_
	.p2align	8
	.type	_Z9mergepackPfPKfPKiPKjS5_,@function
_Z9mergepackPfPKfPKiPKjS5_:             ; @_Z9mergepackPfPKfPKiPKjS5_
; %bb.0:
	s_load_dword s1, s[4:5], 0x34
	s_load_dwordx8 s[8:15], s[4:5], 0x0
	s_mov_b32 s0, s7
	s_waitcnt lgkmcnt(0)
	s_and_b32 s7, s1, 0xffff
	s_ashr_i32 s1, s0, 31
	s_lshl_b64 s[0:1], s[0:1], 2
	s_add_u32 s2, s14, s0
	s_addc_u32 s3, s15, s1
	s_load_dwordx2 s[2:3], s[2:3], 0x0
	s_mul_i32 s6, s6, s7
	v_add_u32_e32 v1, s6, v0
	s_waitcnt lgkmcnt(0)
	v_add_u32_e32 v0, s2, v1
	v_cmp_gt_u32_e32 vcc, s3, v0
	s_and_saveexec_b64 s[2:3], vcc
	s_cbranch_execz .LBB2_2
; %bb.1:
	s_add_u32 s2, s12, s0
	s_addc_u32 s3, s13, s1
	s_load_dword s12, s[2:3], 0x0
	s_load_dwordx2 s[6:7], s[4:5], 0x20
	v_mov_b32_e32 v3, 0
	v_mov_b32_e32 v6, s11
	s_waitcnt lgkmcnt(0)
	s_lshl_b32 s2, s12, 2
	s_add_u32 s0, s6, s0
	s_addc_u32 s1, s7, s1
	s_load_dword s0, s[0:1], 0x0
	s_waitcnt lgkmcnt(0)
	s_add_i32 s2, s2, s0
	v_add_u32_e32 v2, s2, v1
	v_lshlrev_b64 v[4:5], 2, v[2:3]
	v_add_co_u32_e32 v4, vcc, s10, v4
	v_addc_co_u32_e32 v5, vcc, v6, v5, vcc
	global_load_dword v2, v[4:5], off
	v_mov_b32_e32 v1, v3
	v_lshlrev_b64 v[0:1], 2, v[0:1]
	v_mov_b32_e32 v3, s9
	v_add_co_u32_e32 v0, vcc, s8, v0
	v_addc_co_u32_e32 v1, vcc, v3, v1, vcc
	s_waitcnt vmcnt(0)
	global_store_dword v[0:1], v2, off
.LBB2_2:
	s_endpgm
	.section	.rodata,"a",@progbits
	.p2align	6, 0x0
	.amdhsa_kernel _Z9mergepackPfPKfPKiPKjS5_
		.amdhsa_group_segment_fixed_size 0
		.amdhsa_private_segment_fixed_size 0
		.amdhsa_kernarg_size 296
		.amdhsa_user_sgpr_count 6
		.amdhsa_user_sgpr_private_segment_buffer 1
		.amdhsa_user_sgpr_dispatch_ptr 0
		.amdhsa_user_sgpr_queue_ptr 0
		.amdhsa_user_sgpr_kernarg_segment_ptr 1
		.amdhsa_user_sgpr_dispatch_id 0
		.amdhsa_user_sgpr_flat_scratch_init 0
		.amdhsa_user_sgpr_kernarg_preload_length 0
		.amdhsa_user_sgpr_kernarg_preload_offset 0
		.amdhsa_user_sgpr_private_segment_size 0
		.amdhsa_uses_dynamic_stack 0
		.amdhsa_system_sgpr_private_segment_wavefront_offset 0
		.amdhsa_system_sgpr_workgroup_id_x 1
		.amdhsa_system_sgpr_workgroup_id_y 1
		.amdhsa_system_sgpr_workgroup_id_z 0
		.amdhsa_system_sgpr_workgroup_info 0
		.amdhsa_system_vgpr_workitem_id 0
		.amdhsa_next_free_vgpr 7
		.amdhsa_next_free_sgpr 16
		.amdhsa_accum_offset 8
		.amdhsa_reserve_vcc 1
		.amdhsa_reserve_flat_scratch 0
		.amdhsa_float_round_mode_32 0
		.amdhsa_float_round_mode_16_64 0
		.amdhsa_float_denorm_mode_32 3
		.amdhsa_float_denorm_mode_16_64 3
		.amdhsa_dx10_clamp 1
		.amdhsa_ieee_mode 1
		.amdhsa_fp16_overflow 0
		.amdhsa_tg_split 0
		.amdhsa_exception_fp_ieee_invalid_op 0
		.amdhsa_exception_fp_denorm_src 0
		.amdhsa_exception_fp_ieee_div_zero 0
		.amdhsa_exception_fp_ieee_overflow 0
		.amdhsa_exception_fp_ieee_underflow 0
		.amdhsa_exception_fp_ieee_inexact 0
		.amdhsa_exception_int_div_zero 0
	.end_amdhsa_kernel
	.text
.Lfunc_end2:
	.size	_Z9mergepackPfPKfPKiPKjS5_, .Lfunc_end2-_Z9mergepackPfPKfPKiPKjS5_
                                        ; -- End function
	.section	.AMDGPU.csdata,"",@progbits
; Kernel info:
; codeLenInByte = 216
; NumSgprs: 20
; NumVgprs: 7
; NumAgprs: 0
; TotalNumVgprs: 7
; ScratchSize: 0
; MemoryBound: 0
; FloatMode: 240
; IeeeMode: 1
; LDSByteSize: 0 bytes/workgroup (compile time only)
; SGPRBlocks: 2
; VGPRBlocks: 0
; NumSGPRsForWavesPerEU: 20
; NumVGPRsForWavesPerEU: 7
; AccumOffset: 8
; Occupancy: 8
; WaveLimiterHint : 1
; COMPUTE_PGM_RSRC2:SCRATCH_EN: 0
; COMPUTE_PGM_RSRC2:USER_SGPR: 6
; COMPUTE_PGM_RSRC2:TRAP_HANDLER: 0
; COMPUTE_PGM_RSRC2:TGID_X_EN: 1
; COMPUTE_PGM_RSRC2:TGID_Y_EN: 1
; COMPUTE_PGM_RSRC2:TGID_Z_EN: 0
; COMPUTE_PGM_RSRC2:TIDIG_COMP_CNT: 0
; COMPUTE_PGM_RSRC3_GFX90A:ACCUM_OFFSET: 1
; COMPUTE_PGM_RSRC3_GFX90A:TG_SPLIT: 0
	.text
	.p2alignl 6, 3212836864
	.fill 256, 4, 3212836864
	.type	__hip_cuid_52aa54583af6536a,@object ; @__hip_cuid_52aa54583af6536a
	.section	.bss,"aw",@nobits
	.globl	__hip_cuid_52aa54583af6536a
__hip_cuid_52aa54583af6536a:
	.byte	0                               ; 0x0
	.size	__hip_cuid_52aa54583af6536a, 1

	.ident	"AMD clang version 19.0.0git (https://github.com/RadeonOpenCompute/llvm-project roc-6.4.0 25133 c7fe45cf4b819c5991fe208aaa96edf142730f1d)"
	.section	".note.GNU-stack","",@progbits
	.addrsig
	.addrsig_sym __hip_cuid_52aa54583af6536a
	.amdgpu_metadata
---
amdhsa.kernels:
  - .agpr_count:     0
    .args:
      - .address_space:  global
        .offset:         0
        .size:           8
        .value_kind:     global_buffer
      - .address_space:  global
        .offset:         8
        .size:           8
        .value_kind:     global_buffer
      - .offset:         16
        .size:           4
        .value_kind:     by_value
      - .offset:         24
        .size:           4
        .value_kind:     hidden_block_count_x
      - .offset:         28
        .size:           4
        .value_kind:     hidden_block_count_y
      - .offset:         32
        .size:           4
        .value_kind:     hidden_block_count_z
      - .offset:         36
        .size:           2
        .value_kind:     hidden_group_size_x
      - .offset:         38
        .size:           2
        .value_kind:     hidden_group_size_y
      - .offset:         40
        .size:           2
        .value_kind:     hidden_group_size_z
      - .offset:         42
        .size:           2
        .value_kind:     hidden_remainder_x
      - .offset:         44
        .size:           2
        .value_kind:     hidden_remainder_y
      - .offset:         46
        .size:           2
        .value_kind:     hidden_remainder_z
      - .offset:         64
        .size:           8
        .value_kind:     hidden_global_offset_x
      - .offset:         72
        .size:           8
        .value_kind:     hidden_global_offset_y
      - .offset:         80
        .size:           8
        .value_kind:     hidden_global_offset_z
      - .offset:         88
        .size:           2
        .value_kind:     hidden_grid_dims
    .group_segment_fixed_size: 0
    .kernarg_segment_align: 8
    .kernarg_segment_size: 280
    .language:       OpenCL C
    .language_version:
      - 2
      - 0
    .max_flat_workgroup_size: 1024
    .name:           _Z11sortElementP15HIP_vector_typeIfLj4EES1_i
    .private_segment_fixed_size: 0
    .sgpr_count:     11
    .sgpr_spill_count: 0
    .symbol:         _Z11sortElementP15HIP_vector_typeIfLj4EES1_i.kd
    .uniform_work_group_size: 1
    .uses_dynamic_stack: false
    .vgpr_count:     10
    .vgpr_spill_count: 0
    .wavefront_size: 64
  - .agpr_count:     0
    .args:
      - .address_space:  global
        .offset:         0
        .size:           8
        .value_kind:     global_buffer
      - .address_space:  global
        .offset:         8
        .size:           8
        .value_kind:     global_buffer
      - .address_space:  global
        .offset:         16
        .size:           8
        .value_kind:     global_buffer
      - .offset:         24
        .size:           4
        .value_kind:     by_value
      - .offset:         28
        .size:           4
        .value_kind:     by_value
      - .offset:         32
        .size:           4
        .value_kind:     by_value
      - .offset:         40
        .size:           4
        .value_kind:     hidden_block_count_x
      - .offset:         44
        .size:           4
        .value_kind:     hidden_block_count_y
      - .offset:         48
        .size:           4
        .value_kind:     hidden_block_count_z
      - .offset:         52
        .size:           2
        .value_kind:     hidden_group_size_x
      - .offset:         54
        .size:           2
        .value_kind:     hidden_group_size_y
      - .offset:         56
        .size:           2
        .value_kind:     hidden_group_size_z
      - .offset:         58
        .size:           2
        .value_kind:     hidden_remainder_x
      - .offset:         60
        .size:           2
        .value_kind:     hidden_remainder_y
      - .offset:         62
        .size:           2
        .value_kind:     hidden_remainder_z
      - .offset:         80
        .size:           8
        .value_kind:     hidden_global_offset_x
      - .offset:         88
        .size:           8
        .value_kind:     hidden_global_offset_y
      - .offset:         96
        .size:           8
        .value_kind:     hidden_global_offset_z
      - .offset:         104
        .size:           2
        .value_kind:     hidden_grid_dims
    .group_segment_fixed_size: 0
    .kernarg_segment_align: 8
    .kernarg_segment_size: 296
    .language:       OpenCL C
    .language_version:
      - 2
      - 0
    .max_flat_workgroup_size: 1024
    .name:           _Z13mergeSortPassPK15HIP_vector_typeIfLj4EEPS0_PKiiii
    .private_segment_fixed_size: 0
    .sgpr_count:     22
    .sgpr_spill_count: 0
    .symbol:         _Z13mergeSortPassPK15HIP_vector_typeIfLj4EEPS0_PKiiii.kd
    .uniform_work_group_size: 1
    .uses_dynamic_stack: false
    .vgpr_count:     34
    .vgpr_spill_count: 0
    .wavefront_size: 64
  - .agpr_count:     0
    .args:
      - .address_space:  global
        .offset:         0
        .size:           8
        .value_kind:     global_buffer
      - .address_space:  global
        .offset:         8
        .size:           8
        .value_kind:     global_buffer
      - .address_space:  global
        .offset:         16
        .size:           8
        .value_kind:     global_buffer
      - .address_space:  global
        .offset:         24
        .size:           8
        .value_kind:     global_buffer
      - .address_space:  global
        .offset:         32
        .size:           8
        .value_kind:     global_buffer
      - .offset:         40
        .size:           4
        .value_kind:     hidden_block_count_x
      - .offset:         44
        .size:           4
        .value_kind:     hidden_block_count_y
      - .offset:         48
        .size:           4
        .value_kind:     hidden_block_count_z
      - .offset:         52
        .size:           2
        .value_kind:     hidden_group_size_x
      - .offset:         54
        .size:           2
        .value_kind:     hidden_group_size_y
      - .offset:         56
        .size:           2
        .value_kind:     hidden_group_size_z
      - .offset:         58
        .size:           2
        .value_kind:     hidden_remainder_x
      - .offset:         60
        .size:           2
        .value_kind:     hidden_remainder_y
      - .offset:         62
        .size:           2
        .value_kind:     hidden_remainder_z
      - .offset:         80
        .size:           8
        .value_kind:     hidden_global_offset_x
      - .offset:         88
        .size:           8
        .value_kind:     hidden_global_offset_y
      - .offset:         96
        .size:           8
        .value_kind:     hidden_global_offset_z
      - .offset:         104
        .size:           2
        .value_kind:     hidden_grid_dims
    .group_segment_fixed_size: 0
    .kernarg_segment_align: 8
    .kernarg_segment_size: 296
    .language:       OpenCL C
    .language_version:
      - 2
      - 0
    .max_flat_workgroup_size: 1024
    .name:           _Z9mergepackPfPKfPKiPKjS5_
    .private_segment_fixed_size: 0
    .sgpr_count:     20
    .sgpr_spill_count: 0
    .symbol:         _Z9mergepackPfPKfPKiPKjS5_.kd
    .uniform_work_group_size: 1
    .uses_dynamic_stack: false
    .vgpr_count:     7
    .vgpr_spill_count: 0
    .wavefront_size: 64
amdhsa.target:   amdgcn-amd-amdhsa--gfx90a
amdhsa.version:
  - 1
  - 2
...

	.end_amdgpu_metadata
